;; amdgpu-corpus repo=zjin-lcf/HeCBench kind=compiled arch=gfx90a opt=O3
	.text
	.amdgcn_target "amdgcn-amd-amdhsa--gfx90a"
	.amdhsa_code_object_version 6
	.protected	_Z19bit_rev_permutationPlPKlj ; -- Begin function _Z19bit_rev_permutationPlPKlj
	.globl	_Z19bit_rev_permutationPlPKlj
	.p2align	8
	.type	_Z19bit_rev_permutationPlPKlj,@function
_Z19bit_rev_permutationPlPKlj:          ; @_Z19bit_rev_permutationPlPKlj
; %bb.0:
	s_load_dword s7, s[4:5], 0x18
	s_load_dword s10, s[4:5], 0x24
	;; [unrolled: 1-line block ×3, first 2 shown]
	s_load_dwordx4 s[0:3], s[4:5], 0x0
	s_waitcnt lgkmcnt(0)
	s_cmp_eq_u32 s7, 1
	s_cselect_b64 s[8:9], -1, 0
	s_and_b32 s4, s10, 0xffff
	s_lshl_b32 s5, 1, s12
	s_cmp_eq_u32 s5, s4
	s_cselect_b64 s[10:11], -1, 0
	s_and_b64 s[8:9], s[8:9], s[10:11]
	s_andn2_b64 vcc, exec, s[8:9]
	s_cbranch_vccz .LBB0_6
; %bb.1:
	s_mul_i32 s6, s6, s4
	v_add_u32_e32 v4, s6, v0
	v_bfrev_b32_e32 v1, v4
	s_sub_i32 s4, 32, s12
	v_lshrrev_b32_e32 v6, s4, v1
	s_cmp_lg_u64 s[0:1], s[2:3]
	s_cselect_b64 s[4:5], -1, 0
	v_cmp_eq_u32_e32 vcc, v4, v6
	s_and_b64 s[10:11], s[4:5], vcc
	v_cmp_lt_u32_e32 vcc, v4, v6
	s_or_b64 s[6:7], vcc, s[10:11]
	s_mov_b64 s[4:5], 0
	s_mov_b64 s[8:9], 0
                                        ; implicit-def: $vgpr2_vgpr3
	s_and_saveexec_b64 s[14:15], s[6:7]
	s_xor_b64 s[6:7], exec, s[14:15]
	s_cbranch_execz .LBB0_5
; %bb.2:
	v_mov_b32_e32 v5, 0
	v_lshlrev_b64 v[8:9], 3, v[4:5]
	v_mov_b32_e32 v1, s3
	v_add_co_u32_e32 v2, vcc, s2, v8
	v_addc_co_u32_e32 v3, vcc, v1, v9, vcc
	global_load_dwordx2 v[2:3], v[2:3], off
	s_xor_b64 s[10:11], s[10:11], -1
	s_and_saveexec_b64 s[8:9], s[10:11]
	s_cbranch_execz .LBB0_4
; %bb.3:
	v_mov_b32_e32 v7, v5
	v_lshlrev_b64 v[4:5], 3, v[6:7]
	v_mov_b32_e32 v1, s3
	v_add_co_u32_e32 v4, vcc, s2, v4
	v_addc_co_u32_e32 v5, vcc, v1, v5, vcc
	global_load_dwordx2 v[4:5], v[4:5], off
	v_mov_b32_e32 v1, s1
	v_add_co_u32_e32 v8, vcc, s0, v8
	v_addc_co_u32_e32 v9, vcc, v1, v9, vcc
	s_waitcnt vmcnt(0)
	global_store_dwordx2 v[8:9], v[4:5], off
	v_pk_mov_b32 v[4:5], v[6:7], v[6:7] op_sel:[0,1]
.LBB0_4:
	s_or_b64 exec, exec, s[8:9]
	s_mov_b64 s[8:9], exec
.LBB0_5:
	s_or_b64 exec, exec, s[6:7]
	s_and_b64 vcc, exec, s[4:5]
	s_cbranch_vccnz .LBB0_7
	s_branch .LBB0_10
.LBB0_6:
	s_mov_b64 s[8:9], 0
                                        ; implicit-def: $vgpr2_vgpr3
                                        ; implicit-def: $vgpr4_vgpr5
	s_cbranch_execz .LBB0_10
.LBB0_7:
	v_lshlrev_b32_e32 v1, 3, v0
	global_load_dwordx2 v[2:3], v1, s[2:3]
	s_cmp_lg_u64 s[0:1], s[2:3]
	s_cbranch_scc1 .LBB0_9
; %bb.8:
	s_barrier
.LBB0_9:
	v_bfrev_b32_e32 v0, v0
	s_sub_i32 s2, 32, s12
	v_lshrrev_b32_e32 v4, s2, v0
	v_mov_b32_e32 v5, 0
	s_mov_b64 s[8:9], -1
.LBB0_10:
	s_and_saveexec_b64 s[2:3], s[8:9]
	s_cbranch_execnz .LBB0_12
; %bb.11:
	s_endpgm
.LBB0_12:
	v_lshlrev_b64 v[0:1], 3, v[4:5]
	v_mov_b32_e32 v4, s1
	v_add_co_u32_e32 v0, vcc, s0, v0
	v_addc_co_u32_e32 v1, vcc, v4, v1, vcc
	s_waitcnt vmcnt(0)
	global_store_dwordx2 v[0:1], v[2:3], off
	s_endpgm
	.section	.rodata,"a",@progbits
	.p2align	6, 0x0
	.amdhsa_kernel _Z19bit_rev_permutationPlPKlj
		.amdhsa_group_segment_fixed_size 0
		.amdhsa_private_segment_fixed_size 0
		.amdhsa_kernarg_size 280
		.amdhsa_user_sgpr_count 6
		.amdhsa_user_sgpr_private_segment_buffer 1
		.amdhsa_user_sgpr_dispatch_ptr 0
		.amdhsa_user_sgpr_queue_ptr 0
		.amdhsa_user_sgpr_kernarg_segment_ptr 1
		.amdhsa_user_sgpr_dispatch_id 0
		.amdhsa_user_sgpr_flat_scratch_init 0
		.amdhsa_user_sgpr_kernarg_preload_length 0
		.amdhsa_user_sgpr_kernarg_preload_offset 0
		.amdhsa_user_sgpr_private_segment_size 0
		.amdhsa_uses_dynamic_stack 0
		.amdhsa_system_sgpr_private_segment_wavefront_offset 0
		.amdhsa_system_sgpr_workgroup_id_x 1
		.amdhsa_system_sgpr_workgroup_id_y 0
		.amdhsa_system_sgpr_workgroup_id_z 0
		.amdhsa_system_sgpr_workgroup_info 0
		.amdhsa_system_vgpr_workitem_id 0
		.amdhsa_next_free_vgpr 10
		.amdhsa_next_free_sgpr 16
		.amdhsa_accum_offset 12
		.amdhsa_reserve_vcc 1
		.amdhsa_reserve_flat_scratch 0
		.amdhsa_float_round_mode_32 0
		.amdhsa_float_round_mode_16_64 0
		.amdhsa_float_denorm_mode_32 3
		.amdhsa_float_denorm_mode_16_64 3
		.amdhsa_dx10_clamp 1
		.amdhsa_ieee_mode 1
		.amdhsa_fp16_overflow 0
		.amdhsa_tg_split 0
		.amdhsa_exception_fp_ieee_invalid_op 0
		.amdhsa_exception_fp_denorm_src 0
		.amdhsa_exception_fp_ieee_div_zero 0
		.amdhsa_exception_fp_ieee_overflow 0
		.amdhsa_exception_fp_ieee_underflow 0
		.amdhsa_exception_fp_ieee_inexact 0
		.amdhsa_exception_int_div_zero 0
	.end_amdhsa_kernel
	.text
.Lfunc_end0:
	.size	_Z19bit_rev_permutationPlPKlj, .Lfunc_end0-_Z19bit_rev_permutationPlPKlj
                                        ; -- End function
	.section	.AMDGPU.csdata,"",@progbits
; Kernel info:
; codeLenInByte = 372
; NumSgprs: 20
; NumVgprs: 10
; NumAgprs: 0
; TotalNumVgprs: 10
; ScratchSize: 0
; MemoryBound: 0
; FloatMode: 240
; IeeeMode: 1
; LDSByteSize: 0 bytes/workgroup (compile time only)
; SGPRBlocks: 2
; VGPRBlocks: 1
; NumSGPRsForWavesPerEU: 20
; NumVGPRsForWavesPerEU: 10
; AccumOffset: 12
; Occupancy: 8
; WaveLimiterHint : 0
; COMPUTE_PGM_RSRC2:SCRATCH_EN: 0
; COMPUTE_PGM_RSRC2:USER_SGPR: 6
; COMPUTE_PGM_RSRC2:TRAP_HANDLER: 0
; COMPUTE_PGM_RSRC2:TGID_X_EN: 1
; COMPUTE_PGM_RSRC2:TGID_Y_EN: 0
; COMPUTE_PGM_RSRC2:TGID_Z_EN: 0
; COMPUTE_PGM_RSRC2:TIDIG_COMP_CNT: 0
; COMPUTE_PGM_RSRC3_GFX90A:ACCUM_OFFSET: 2
; COMPUTE_PGM_RSRC3_GFX90A:TG_SPLIT: 0
	.text
	.protected	_Z21bit_rev_permutation_zPlPKlj ; -- Begin function _Z21bit_rev_permutation_zPlPKlj
	.globl	_Z21bit_rev_permutation_zPlPKlj
	.p2align	8
	.type	_Z21bit_rev_permutation_zPlPKlj,@function
_Z21bit_rev_permutation_zPlPKlj:        ; @_Z21bit_rev_permutation_zPlPKlj
; %bb.0:
	s_mov_b64 s[54:55], s[2:3]
	s_mov_b64 s[52:53], s[0:1]
	s_load_dwordx4 s[8:11], s[4:5], 0x0
	s_load_dword s0, s[4:5], 0x10
	s_load_dword s1, s[4:5], 0x18
	;; [unrolled: 1-line block ×3, first 2 shown]
	v_and_b32_e32 v29, 31, v0
	v_bfrev_b32_e32 v1, v29
	v_lshlrev_b32_e32 v3, 8, v0
	s_add_u32 s52, s52, s7
	v_lshrrev_b32_e32 v2, 27, v1
	v_and_b32_e32 v3, 0x3e000, v3
	v_lshrrev_b32_e32 v1, 24, v1
	s_addc_u32 s53, s53, 0
	s_waitcnt lgkmcnt(0)
	s_add_i32 s12, s0, -5
	s_and_b32 s2, s2, 0xffff
	v_add3_u32 v1, 0, v3, v1
	v_mul_u32_u24_e32 v2, 0xf8, v2
	s_add_i32 s48, s6, s1
	s_mul_i32 s13, s6, s2
	s_sub_i32 s14, 42, s0
	s_mul_i32 s15, s1, s2
	s_lshl_b32 s16, 1, s12
	s_lshl_b32 s17, 2, s12
	;; [unrolled: 1-line block ×31, first 2 shown]
	s_mul_i32 s48, s48, s2
	s_mov_b64 s[2:3], 0
	s_movk_i32 s49, 0xffe0
	v_mov_b32_e32 v3, 0
	v_add_u32_e32 v28, v1, v2
	s_branch .LBB1_2
.LBB1_1:                                ;   in Loop: Header=BB1_2 Depth=1
	s_or_b64 exec, exec, s[4:5]
	v_add_u32_e32 v2, s48, v0
	v_lshrrev_b32_e32 v2, s12, v2
	v_cmp_ne_u32_e32 vcc, 0, v2
	s_or_b64 s[2:3], vcc, s[2:3]
	v_add_u32_e32 v0, s15, v0
	s_andn2_b64 exec, exec, s[2:3]
	s_cbranch_execz .LBB1_69
.LBB1_2:                                ; =>This Inner Loop Header: Depth=1
	v_add_u32_e32 v2, s13, v0
	v_lshrrev_b32_e32 v4, 5, v2
	v_bfrev_b32_e32 v5, v4
	v_lshrrev_b32_e32 v5, s14, v5
	v_cmp_le_u32_e32 vcc, v4, v5
	s_and_saveexec_b64 s[4:5], vcc
	s_cbranch_execz .LBB1_1
; %bb.3:                                ;   in Loop: Header=BB1_2 Depth=1
	v_and_or_b32 v2, v2, s49, v29
	v_lshlrev_b64 v[8:9], 3, v[2:3]
	v_add_co_u32_e32 v6, vcc, s10, v8
	buffer_store_dword v8, off, s[52:55], 0 offset:48 ; 4-byte Folded Spill
	s_nop 0
	buffer_store_dword v9, off, s[52:55], 0 offset:52 ; 4-byte Folded Spill
	v_mov_b32_e32 v7, s11
	v_lshl_or_b32 v94, v5, 5, v29
	v_addc_co_u32_e32 v7, vcc, v7, v9, vcc
	global_load_dwordx2 v[6:7], v[6:7], off
	v_cmp_ne_u32_e32 vcc, v4, v5
	s_waitcnt vmcnt(0)
	v_pk_mov_b32 v[4:5], v[6:7], v[6:7] op_sel:[0,1]
	buffer_store_dword v4, off, s[52:55], 0 ; 4-byte Folded Spill
	s_nop 0
	buffer_store_dword v5, off, s[52:55], 0 offset:4 ; 4-byte Folded Spill
	ds_write_b64 v1, v[6:7]
	s_and_saveexec_b64 s[6:7], vcc
	s_cbranch_execz .LBB1_5
; %bb.4:                                ;   in Loop: Header=BB1_2 Depth=1
	v_mov_b32_e32 v95, v3
	v_lshlrev_b64 v[4:5], 3, v[94:95]
	v_mov_b32_e32 v6, s11
	v_add_co_u32_e64 v4, s[0:1], s10, v4
	v_addc_co_u32_e64 v5, s[0:1], v6, v5, s[0:1]
	global_load_dwordx2 v[4:5], v[4:5], off
	s_waitcnt vmcnt(0)
	buffer_store_dword v4, off, s[52:55], 0 ; 4-byte Folded Spill
	s_nop 0
	buffer_store_dword v5, off, s[52:55], 0 offset:4 ; 4-byte Folded Spill
.LBB1_5:                                ;   in Loop: Header=BB1_2 Depth=1
	s_or_b64 exec, exec, s[6:7]
	v_add_u32_e32 v4, s16, v2
	v_mov_b32_e32 v5, v3
	v_lshlrev_b64 v[6:7], 3, v[4:5]
	v_add_co_u32_e64 v4, s[0:1], s10, v6
	buffer_store_dword v6, off, s[52:55], 0 offset:56 ; 4-byte Folded Spill
	s_nop 0
	buffer_store_dword v7, off, s[52:55], 0 offset:60 ; 4-byte Folded Spill
	v_mov_b32_e32 v5, s11
	v_add_u32_e32 v102, s16, v94
	v_addc_co_u32_e64 v5, s[0:1], v5, v7, s[0:1]
	global_load_dwordx2 v[6:7], v[4:5], off
	s_waitcnt vmcnt(0)
	v_pk_mov_b32 v[4:5], v[6:7], v[6:7] op_sel:[0,1]
	buffer_store_dword v4, off, s[52:55], 0 offset:8 ; 4-byte Folded Spill
	s_nop 0
	buffer_store_dword v5, off, s[52:55], 0 offset:12 ; 4-byte Folded Spill
	ds_write_b64 v1, v[6:7] offset:256
	s_and_saveexec_b64 s[6:7], vcc
	s_cbranch_execz .LBB1_7
; %bb.6:                                ;   in Loop: Header=BB1_2 Depth=1
	v_mov_b32_e32 v103, v3
	v_lshlrev_b64 v[4:5], 3, v[102:103]
	v_mov_b32_e32 v6, s11
	v_add_co_u32_e64 v4, s[0:1], s10, v4
	v_addc_co_u32_e64 v5, s[0:1], v6, v5, s[0:1]
	global_load_dwordx2 v[4:5], v[4:5], off
	s_waitcnt vmcnt(0)
	buffer_store_dword v4, off, s[52:55], 0 offset:8 ; 4-byte Folded Spill
	s_nop 0
	buffer_store_dword v5, off, s[52:55], 0 offset:12 ; 4-byte Folded Spill
.LBB1_7:                                ;   in Loop: Header=BB1_2 Depth=1
	s_or_b64 exec, exec, s[6:7]
	v_add_u32_e32 v4, s17, v2
	v_mov_b32_e32 v5, v3
	v_lshlrev_b64 v[6:7], 3, v[4:5]
	v_add_co_u32_e64 v4, s[0:1], s10, v6
	buffer_store_dword v6, off, s[52:55], 0 offset:64 ; 4-byte Folded Spill
	s_nop 0
	buffer_store_dword v7, off, s[52:55], 0 offset:68 ; 4-byte Folded Spill
	v_mov_b32_e32 v5, s11
	v_add_u32_e32 v98, s17, v94
	v_addc_co_u32_e64 v5, s[0:1], v5, v7, s[0:1]
	global_load_dwordx2 v[6:7], v[4:5], off
	s_waitcnt vmcnt(0)
	v_pk_mov_b32 v[4:5], v[6:7], v[6:7] op_sel:[0,1]
	buffer_store_dword v4, off, s[52:55], 0 offset:16 ; 4-byte Folded Spill
	s_nop 0
	buffer_store_dword v5, off, s[52:55], 0 offset:20 ; 4-byte Folded Spill
	ds_write_b64 v1, v[6:7] offset:512
	s_and_saveexec_b64 s[6:7], vcc
	s_cbranch_execz .LBB1_9
; %bb.8:                                ;   in Loop: Header=BB1_2 Depth=1
	v_mov_b32_e32 v99, v3
	v_lshlrev_b64 v[4:5], 3, v[98:99]
	v_mov_b32_e32 v6, s11
	v_add_co_u32_e64 v4, s[0:1], s10, v4
	v_addc_co_u32_e64 v5, s[0:1], v6, v5, s[0:1]
	global_load_dwordx2 v[4:5], v[4:5], off
	s_waitcnt vmcnt(0)
	buffer_store_dword v4, off, s[52:55], 0 offset:16 ; 4-byte Folded Spill
	s_nop 0
	buffer_store_dword v5, off, s[52:55], 0 offset:20 ; 4-byte Folded Spill
.LBB1_9:                                ;   in Loop: Header=BB1_2 Depth=1
	s_or_b64 exec, exec, s[6:7]
	v_add_u32_e32 v4, s18, v2
	v_mov_b32_e32 v5, v3
	v_lshlrev_b64 v[6:7], 3, v[4:5]
	v_add_co_u32_e64 v4, s[0:1], s10, v6
	buffer_store_dword v6, off, s[52:55], 0 offset:72 ; 4-byte Folded Spill
	s_nop 0
	buffer_store_dword v7, off, s[52:55], 0 offset:76 ; 4-byte Folded Spill
	v_mov_b32_e32 v5, s11
	v_add_u32_e32 v106, s18, v94
	v_addc_co_u32_e64 v5, s[0:1], v5, v7, s[0:1]
	global_load_dwordx2 v[6:7], v[4:5], off
	s_waitcnt vmcnt(0)
	v_pk_mov_b32 v[4:5], v[6:7], v[6:7] op_sel:[0,1]
	buffer_store_dword v4, off, s[52:55], 0 offset:24 ; 4-byte Folded Spill
	s_nop 0
	buffer_store_dword v5, off, s[52:55], 0 offset:28 ; 4-byte Folded Spill
	ds_write_b64 v1, v[6:7] offset:768
	s_and_saveexec_b64 s[6:7], vcc
	s_cbranch_execz .LBB1_11
; %bb.10:                               ;   in Loop: Header=BB1_2 Depth=1
	v_mov_b32_e32 v107, v3
	v_lshlrev_b64 v[4:5], 3, v[106:107]
	v_mov_b32_e32 v6, s11
	v_add_co_u32_e64 v4, s[0:1], s10, v4
	v_addc_co_u32_e64 v5, s[0:1], v6, v5, s[0:1]
	global_load_dwordx2 v[4:5], v[4:5], off
	s_waitcnt vmcnt(0)
	buffer_store_dword v4, off, s[52:55], 0 offset:24 ; 4-byte Folded Spill
	s_nop 0
	buffer_store_dword v5, off, s[52:55], 0 offset:28 ; 4-byte Folded Spill
.LBB1_11:                               ;   in Loop: Header=BB1_2 Depth=1
	s_or_b64 exec, exec, s[6:7]
	v_add_u32_e32 v4, s19, v2
	v_mov_b32_e32 v5, v3
	v_lshlrev_b64 v[6:7], 3, v[4:5]
	v_add_co_u32_e64 v4, s[0:1], s10, v6
	buffer_store_dword v6, off, s[52:55], 0 offset:80 ; 4-byte Folded Spill
	s_nop 0
	buffer_store_dword v7, off, s[52:55], 0 offset:84 ; 4-byte Folded Spill
	v_mov_b32_e32 v5, s11
	v_add_u32_e32 v112, s19, v94
	v_addc_co_u32_e64 v5, s[0:1], v5, v7, s[0:1]
	global_load_dwordx2 v[6:7], v[4:5], off
	s_waitcnt vmcnt(0)
	v_pk_mov_b32 v[4:5], v[6:7], v[6:7] op_sel:[0,1]
	buffer_store_dword v4, off, s[52:55], 0 offset:32 ; 4-byte Folded Spill
	s_nop 0
	buffer_store_dword v5, off, s[52:55], 0 offset:36 ; 4-byte Folded Spill
	ds_write_b64 v1, v[6:7] offset:1024
	s_and_saveexec_b64 s[6:7], vcc
	s_cbranch_execz .LBB1_13
; %bb.12:                               ;   in Loop: Header=BB1_2 Depth=1
	v_mov_b32_e32 v113, v3
	v_lshlrev_b64 v[4:5], 3, v[112:113]
	v_mov_b32_e32 v6, s11
	v_add_co_u32_e64 v4, s[0:1], s10, v4
	v_addc_co_u32_e64 v5, s[0:1], v6, v5, s[0:1]
	global_load_dwordx2 v[4:5], v[4:5], off
	s_waitcnt vmcnt(0)
	buffer_store_dword v4, off, s[52:55], 0 offset:32 ; 4-byte Folded Spill
	s_nop 0
	buffer_store_dword v5, off, s[52:55], 0 offset:36 ; 4-byte Folded Spill
.LBB1_13:                               ;   in Loop: Header=BB1_2 Depth=1
	;; [unrolled: 32-line block ×3, first 2 shown]
	s_or_b64 exec, exec, s[6:7]
	v_add_u32_e32 v4, s21, v2
	v_mov_b32_e32 v5, v3
	v_lshlrev_b64 v[6:7], 3, v[4:5]
	v_add_co_u32_e64 v4, s[0:1], s10, v6
	buffer_store_dword v6, off, s[52:55], 0 offset:96 ; 4-byte Folded Spill
	s_nop 0
	buffer_store_dword v7, off, s[52:55], 0 offset:100 ; 4-byte Folded Spill
	v_mov_b32_e32 v5, s11
	v_add_u32_e32 v116, s21, v94
	v_addc_co_u32_e64 v5, s[0:1], v5, v7, s[0:1]
	global_load_dwordx2 v[38:39], v[4:5], off
	s_waitcnt vmcnt(0)
	ds_write_b64 v1, v[38:39] offset:1536
	s_and_saveexec_b64 s[6:7], vcc
	s_cbranch_execz .LBB1_17
; %bb.16:                               ;   in Loop: Header=BB1_2 Depth=1
	v_mov_b32_e32 v117, v3
	v_lshlrev_b64 v[4:5], 3, v[116:117]
	v_mov_b32_e32 v6, s11
	v_add_co_u32_e64 v4, s[0:1], s10, v4
	v_addc_co_u32_e64 v5, s[0:1], v6, v5, s[0:1]
	global_load_dwordx2 v[38:39], v[4:5], off
.LBB1_17:                               ;   in Loop: Header=BB1_2 Depth=1
	s_or_b64 exec, exec, s[6:7]
	v_add_u32_e32 v4, s22, v2
	v_mov_b32_e32 v5, v3
	v_lshlrev_b64 v[6:7], 3, v[4:5]
	v_add_co_u32_e64 v4, s[0:1], s10, v6
	buffer_store_dword v6, off, s[52:55], 0 offset:104 ; 4-byte Folded Spill
	s_nop 0
	buffer_store_dword v7, off, s[52:55], 0 offset:108 ; 4-byte Folded Spill
	v_mov_b32_e32 v5, s11
	v_add_u32_e32 v122, s22, v94
	v_addc_co_u32_e64 v5, s[0:1], v5, v7, s[0:1]
	global_load_dwordx2 v[44:45], v[4:5], off
	s_waitcnt vmcnt(0)
	ds_write_b64 v1, v[44:45] offset:1792
	s_and_saveexec_b64 s[6:7], vcc
	s_cbranch_execz .LBB1_19
; %bb.18:                               ;   in Loop: Header=BB1_2 Depth=1
	v_mov_b32_e32 v123, v3
	v_lshlrev_b64 v[4:5], 3, v[122:123]
	v_mov_b32_e32 v6, s11
	v_add_co_u32_e64 v4, s[0:1], s10, v4
	v_addc_co_u32_e64 v5, s[0:1], v6, v5, s[0:1]
	global_load_dwordx2 v[44:45], v[4:5], off
.LBB1_19:                               ;   in Loop: Header=BB1_2 Depth=1
	;; [unrolled: 24-line block ×21, first 2 shown]
	s_or_b64 exec, exec, s[6:7]
	v_add_u32_e32 v10, s43, v2
	v_mov_b32_e32 v11, v3
	v_lshlrev_b64 v[14:15], 3, v[10:11]
	v_add_co_u32_e64 v10, s[0:1], s10, v14
	buffer_store_dword v14, off, s[52:55], 0 offset:264 ; 4-byte Folded Spill
	s_nop 0
	buffer_store_dword v15, off, s[52:55], 0 offset:268 ; 4-byte Folded Spill
	v_mov_b32_e32 v7, s11
	v_addc_co_u32_e64 v11, s[0:1], v7, v15, s[0:1]
	global_load_dwordx2 v[64:65], v[10:11], off
	v_add_u32_e32 v10, s43, v94
	s_waitcnt vmcnt(0)
	ds_write_b64 v1, v[64:65] offset:6912
	s_and_saveexec_b64 s[6:7], vcc
	s_cbranch_execz .LBB1_59
; %bb.58:                               ;   in Loop: Header=BB1_2 Depth=1
	v_mov_b32_e32 v11, v3
	v_lshlrev_b64 v[14:15], 3, v[10:11]
	v_mov_b32_e32 v7, s11
	v_add_co_u32_e64 v14, s[0:1], s10, v14
	v_addc_co_u32_e64 v15, s[0:1], v7, v15, s[0:1]
	global_load_dwordx2 v[64:65], v[14:15], off
.LBB1_59:                               ;   in Loop: Header=BB1_2 Depth=1
	s_or_b64 exec, exec, s[6:7]
	v_add_u32_e32 v14, s44, v2
	v_mov_b32_e32 v15, v3
	v_lshlrev_b64 v[18:19], 3, v[14:15]
	v_add_co_u32_e64 v14, s[0:1], s10, v18
	buffer_store_dword v18, off, s[52:55], 0 offset:272 ; 4-byte Folded Spill
	s_nop 0
	buffer_store_dword v19, off, s[52:55], 0 offset:276 ; 4-byte Folded Spill
	v_mov_b32_e32 v7, s11
	v_add_u32_e32 v96, s44, v94
	v_addc_co_u32_e64 v15, s[0:1], v7, v19, s[0:1]
	global_load_dwordx2 v[76:77], v[14:15], off
	s_waitcnt vmcnt(0)
	ds_write_b64 v1, v[76:77] offset:7168
	s_and_saveexec_b64 s[6:7], vcc
	s_cbranch_execz .LBB1_61
; %bb.60:                               ;   in Loop: Header=BB1_2 Depth=1
	v_mov_b32_e32 v97, v3
	v_lshlrev_b64 v[14:15], 3, v[96:97]
	v_mov_b32_e32 v7, s11
	v_add_co_u32_e64 v14, s[0:1], s10, v14
	v_addc_co_u32_e64 v15, s[0:1], v7, v15, s[0:1]
	global_load_dwordx2 v[76:77], v[14:15], off
.LBB1_61:                               ;   in Loop: Header=BB1_2 Depth=1
	s_or_b64 exec, exec, s[6:7]
	v_add_u32_e32 v14, s45, v2
	v_mov_b32_e32 v15, v3
	v_lshlrev_b64 v[18:19], 3, v[14:15]
	v_add_co_u32_e64 v14, s[0:1], s10, v18
	buffer_store_dword v18, off, s[52:55], 0 offset:280 ; 4-byte Folded Spill
	s_nop 0
	buffer_store_dword v19, off, s[52:55], 0 offset:284 ; 4-byte Folded Spill
	v_mov_b32_e32 v7, s11
	v_add_u32_e32 v108, s45, v94
	v_addc_co_u32_e64 v15, s[0:1], v7, v19, s[0:1]
	global_load_dwordx2 v[88:89], v[14:15], off
	;; [unrolled: 24-line block ×3, first 2 shown]
	s_waitcnt vmcnt(0)
	ds_write_b64 v1, v[14:15] offset:7680
	s_and_saveexec_b64 s[6:7], vcc
	s_cbranch_execz .LBB1_65
; %bb.64:                               ;   in Loop: Header=BB1_2 Depth=1
	v_mov_b32_e32 v19, v3
	v_lshlrev_b64 v[14:15], 3, v[18:19]
	v_mov_b32_e32 v7, s11
	v_add_co_u32_e64 v14, s[0:1], s10, v14
	v_addc_co_u32_e64 v15, s[0:1], v7, v15, s[0:1]
	global_load_dwordx2 v[14:15], v[14:15], off
.LBB1_65:                               ;   in Loop: Header=BB1_2 Depth=1
	s_or_b64 exec, exec, s[6:7]
	v_add_u32_e32 v2, s47, v2
	v_lshlrev_b64 v[124:125], 3, v[2:3]
	v_mov_b32_e32 v2, s11
	v_add_co_u32_e64 v22, s[0:1], s10, v124
	v_addc_co_u32_e64 v23, s[0:1], v2, v125, s[0:1]
	global_load_dwordx2 v[104:105], v[22:23], off
	v_add_u32_e32 v2, s47, v94
	v_lshlrev_b64 v[34:35], 3, v[2:3]
	s_waitcnt vmcnt(0)
	ds_write_b64 v1, v[104:105] offset:7936
	s_and_saveexec_b64 s[6:7], vcc
	s_cbranch_execz .LBB1_67
; %bb.66:                               ;   in Loop: Header=BB1_2 Depth=1
	v_mov_b32_e32 v2, s11
	v_add_co_u32_e64 v22, s[0:1], s10, v34
	v_addc_co_u32_e64 v23, s[0:1], v2, v35, s[0:1]
	global_load_dwordx2 v[104:105], v[22:23], off
.LBB1_67:                               ;   in Loop: Header=BB1_2 Depth=1
	s_or_b64 exec, exec, s[6:7]
	ds_read2_b64 v[22:25], v28 offset1:1
	v_mov_b32_e32 v95, v3
	v_lshlrev_b64 v[94:95], 3, v[94:95]
	v_add_co_u32_e64 v94, s[0:1], s8, v94
	v_mov_b32_e32 v2, s9
	v_addc_co_u32_e64 v95, s[0:1], v2, v95, s[0:1]
	v_mov_b32_e32 v103, v3
	s_waitcnt lgkmcnt(0)
	global_store_dwordx2 v[94:95], v[22:23], off
	v_lshlrev_b64 v[22:23], 3, v[102:103]
	v_add_co_u32_e64 v22, s[0:1], s8, v22
	v_addc_co_u32_e64 v23, s[0:1], v2, v23, s[0:1]
	global_store_dwordx2 v[22:23], v[24:25], off
	ds_read2_b64 v[22:25], v28 offset0:2 offset1:3
	v_mov_b32_e32 v99, v3
	v_lshlrev_b64 v[94:95], 3, v[98:99]
	v_add_co_u32_e64 v94, s[0:1], s8, v94
	v_addc_co_u32_e64 v95, s[0:1], v2, v95, s[0:1]
	v_mov_b32_e32 v107, v3
	s_waitcnt lgkmcnt(0)
	global_store_dwordx2 v[94:95], v[22:23], off
	v_lshlrev_b64 v[22:23], 3, v[106:107]
	v_add_co_u32_e64 v22, s[0:1], s8, v22
	v_addc_co_u32_e64 v23, s[0:1], v2, v23, s[0:1]
	global_store_dwordx2 v[22:23], v[24:25], off
	ds_read2_b64 v[22:25], v28 offset0:4 offset1:5
	v_mov_b32_e32 v113, v3
	v_lshlrev_b64 v[94:95], 3, v[112:113]
	v_add_co_u32_e64 v94, s[0:1], s8, v94
	;; [unrolled: 12-line block ×3, first 2 shown]
	v_addc_co_u32_e64 v95, s[0:1], v2, v95, s[0:1]
	v_mov_b32_e32 v123, v3
	s_waitcnt lgkmcnt(0)
	global_store_dwordx2 v[94:95], v[22:23], off
	v_lshlrev_b64 v[22:23], 3, v[122:123]
	v_add_co_u32_e64 v22, s[0:1], s8, v22
	v_addc_co_u32_e64 v23, s[0:1], v2, v23, s[0:1]
	v_mov_b32_e32 v127, v3
	global_store_dwordx2 v[22:23], v[24:25], off
	ds_read2_b64 v[22:25], v28 offset0:8 offset1:9
	v_lshlrev_b64 v[94:95], 3, v[126:127]
	v_add_co_u32_e64 v94, s[0:1], s8, v94
	v_mov_b32_e32 v9, v3
	v_addc_co_u32_e64 v95, s[0:1], v2, v95, s[0:1]
	v_lshlrev_b64 v[8:9], 3, v[8:9]
	v_add_co_u32_e64 v8, s[0:1], s8, v8
	v_addc_co_u32_e64 v9, s[0:1], v2, v9, s[0:1]
	s_waitcnt lgkmcnt(0)
	global_store_dwordx2 v[94:95], v[22:23], off
	global_store_dwordx2 v[8:9], v[24:25], off
	ds_read2_b64 v[22:25], v28 offset0:10 offset1:11
	v_mov_b32_e32 v7, v3
	v_lshlrev_b64 v[6:7], 3, v[6:7]
	v_add_co_u32_e64 v6, s[0:1], s8, v6
	v_addc_co_u32_e64 v7, s[0:1], v2, v7, s[0:1]
	v_mov_b32_e32 v17, v3
	s_waitcnt lgkmcnt(0)
	global_store_dwordx2 v[6:7], v[22:23], off
	v_lshlrev_b64 v[6:7], 3, v[16:17]
	v_add_co_u32_e64 v6, s[0:1], s8, v6
	v_addc_co_u32_e64 v7, s[0:1], v2, v7, s[0:1]
	global_store_dwordx2 v[6:7], v[24:25], off
	ds_read2_b64 v[6:9], v28 offset0:12 offset1:13
	v_mov_b32_e32 v21, v3
	v_lshlrev_b64 v[16:17], 3, v[20:21]
	v_add_co_u32_e64 v16, s[0:1], s8, v16
	v_addc_co_u32_e64 v17, s[0:1], v2, v17, s[0:1]
	v_mov_b32_e32 v31, v3
	s_waitcnt lgkmcnt(0)
	global_store_dwordx2 v[16:17], v[6:7], off
	v_lshlrev_b64 v[6:7], 3, v[30:31]
	v_add_co_u32_e64 v6, s[0:1], s8, v6
	v_addc_co_u32_e64 v7, s[0:1], v2, v7, s[0:1]
	;; [unrolled: 12-line block ×10, first 2 shown]
	global_store_dwordx2 v[6:7], v[8:9], off
	ds_read2_b64 v[6:9], v28 offset0:30 offset1:31
	v_mov_b32_e32 v19, v3
	v_lshlrev_b64 v[10:11], 3, v[18:19]
	v_add_co_u32_e64 v10, s[0:1], s8, v10
	v_addc_co_u32_e64 v11, s[0:1], v2, v11, s[0:1]
	s_waitcnt lgkmcnt(0)
	global_store_dwordx2 v[10:11], v[6:7], off
	v_add_co_u32_e64 v6, s[0:1], s8, v34
	v_addc_co_u32_e64 v7, s[0:1], v2, v35, s[0:1]
	global_store_dwordx2 v[6:7], v[8:9], off
	s_and_b64 exec, exec, vcc
	s_cbranch_execz .LBB1_1
; %bb.68:                               ;   in Loop: Header=BB1_2 Depth=1
	buffer_load_dword v6, off, s[52:55], 0  ; 4-byte Folded Reload
	buffer_load_dword v7, off, s[52:55], 0 offset:4 ; 4-byte Folded Reload
	buffer_load_dword v8, off, s[52:55], 0 offset:8 ; 4-byte Folded Reload
	;; [unrolled: 1-line block ×3, first 2 shown]
	v_add_u32_e32 v2, 0x800, v1
	s_waitcnt vmcnt(0)
	ds_write2_b64 v1, v[6:7], v[8:9] offset1:32
	buffer_load_dword v6, off, s[52:55], 0 offset:16 ; 4-byte Folded Reload
	buffer_load_dword v7, off, s[52:55], 0 offset:20 ; 4-byte Folded Reload
	;; [unrolled: 1-line block ×4, first 2 shown]
	s_waitcnt vmcnt(0)
	ds_write2_b64 v1, v[6:7], v[8:9] offset0:64 offset1:96
	buffer_load_dword v6, off, s[52:55], 0 offset:32 ; 4-byte Folded Reload
	buffer_load_dword v7, off, s[52:55], 0 offset:36 ; 4-byte Folded Reload
	;; [unrolled: 1-line block ×4, first 2 shown]
	s_waitcnt vmcnt(0)
	ds_write2_b64 v1, v[6:7], v[8:9] offset0:128 offset1:160
	ds_write2_b64 v1, v[38:39], v[44:45] offset0:192 offset1:224
	ds_write2_b64 v2, v[48:49], v[52:53] offset1:32
	ds_write2_b64 v2, v[58:59], v[62:63] offset0:64 offset1:96
	ds_write2_b64 v2, v[66:67], v[72:73] offset0:128 offset1:160
	;; [unrolled: 1-line block ×3, first 2 shown]
	v_add_u32_e32 v2, 0x1000, v1
	ds_write2_b64 v2, v[86:87], v[92:93] offset1:32
	ds_write2_b64 v2, v[100:101], v[110:111] offset0:64 offset1:96
	ds_write2_b64 v2, v[120:121], v[4:5] offset0:128 offset1:160
	;; [unrolled: 1-line block ×3, first 2 shown]
	v_add_u32_e32 v2, 0x1800, v1
	ds_write2_b64 v2, v[32:33], v[42:43] offset1:32
	ds_write2_b64 v2, v[54:55], v[64:65] offset0:64 offset1:96
	ds_write2_b64 v2, v[76:77], v[88:89] offset0:128 offset1:160
	;; [unrolled: 1-line block ×3, first 2 shown]
	ds_read2_b64 v[4:7], v28 offset1:1
	buffer_load_dword v8, off, s[52:55], 0 offset:48 ; 4-byte Folded Reload
	buffer_load_dword v9, off, s[52:55], 0 offset:52 ; 4-byte Folded Reload
	v_mov_b32_e32 v2, s9
	s_waitcnt vmcnt(1)
	v_add_co_u32_e32 v12, vcc, s8, v8
	s_waitcnt vmcnt(0)
	v_addc_co_u32_e32 v13, vcc, v2, v9, vcc
	s_waitcnt lgkmcnt(0)
	global_store_dwordx2 v[12:13], v[4:5], off
	ds_read2_b64 v[8:11], v28 offset0:2 offset1:3
	buffer_load_dword v4, off, s[52:55], 0 offset:56 ; 4-byte Folded Reload
	buffer_load_dword v5, off, s[52:55], 0 offset:60 ; 4-byte Folded Reload
	s_waitcnt vmcnt(1)
	v_add_co_u32_e32 v4, vcc, s8, v4
	s_waitcnt vmcnt(0)
	v_addc_co_u32_e32 v5, vcc, v2, v5, vcc
	global_store_dwordx2 v[4:5], v[6:7], off
	buffer_load_dword v4, off, s[52:55], 0 offset:64 ; 4-byte Folded Reload
	s_nop 0
	buffer_load_dword v5, off, s[52:55], 0 offset:68 ; 4-byte Folded Reload
	s_waitcnt vmcnt(1)
	v_add_co_u32_e32 v4, vcc, s8, v4
	s_waitcnt vmcnt(0)
	v_addc_co_u32_e32 v5, vcc, v2, v5, vcc
	s_waitcnt lgkmcnt(0)
	global_store_dwordx2 v[4:5], v[8:9], off
	buffer_load_dword v4, off, s[52:55], 0 offset:72 ; 4-byte Folded Reload
	s_nop 0
	buffer_load_dword v5, off, s[52:55], 0 offset:76 ; 4-byte Folded Reload
	s_waitcnt vmcnt(1)
	v_add_co_u32_e32 v4, vcc, s8, v4
	s_waitcnt vmcnt(0)
	v_addc_co_u32_e32 v5, vcc, v2, v5, vcc
	global_store_dwordx2 v[4:5], v[10:11], off
	ds_read2_b64 v[4:7], v28 offset0:4 offset1:5
	buffer_load_dword v8, off, s[52:55], 0 offset:80 ; 4-byte Folded Reload
	buffer_load_dword v9, off, s[52:55], 0 offset:84 ; 4-byte Folded Reload
	s_waitcnt vmcnt(1)
	v_add_co_u32_e32 v12, vcc, s8, v8
	s_waitcnt vmcnt(0)
	v_addc_co_u32_e32 v13, vcc, v2, v9, vcc
	s_waitcnt lgkmcnt(0)
	global_store_dwordx2 v[12:13], v[4:5], off
	ds_read2_b64 v[8:11], v28 offset0:6 offset1:7
	buffer_load_dword v4, off, s[52:55], 0 offset:88 ; 4-byte Folded Reload
	buffer_load_dword v5, off, s[52:55], 0 offset:92 ; 4-byte Folded Reload
	s_waitcnt vmcnt(1)
	v_add_co_u32_e32 v4, vcc, s8, v4
	s_waitcnt vmcnt(0)
	v_addc_co_u32_e32 v5, vcc, v2, v5, vcc
	global_store_dwordx2 v[4:5], v[6:7], off
	buffer_load_dword v4, off, s[52:55], 0 offset:96 ; 4-byte Folded Reload
	s_nop 0
	buffer_load_dword v5, off, s[52:55], 0 offset:100 ; 4-byte Folded Reload
	s_waitcnt vmcnt(1)
	v_add_co_u32_e32 v4, vcc, s8, v4
	s_waitcnt vmcnt(0)
	v_addc_co_u32_e32 v5, vcc, v2, v5, vcc
	s_waitcnt lgkmcnt(0)
	global_store_dwordx2 v[4:5], v[8:9], off
	buffer_load_dword v4, off, s[52:55], 0 offset:104 ; 4-byte Folded Reload
	s_nop 0
	buffer_load_dword v5, off, s[52:55], 0 offset:108 ; 4-byte Folded Reload
	s_waitcnt vmcnt(1)
	v_add_co_u32_e32 v4, vcc, s8, v4
	s_waitcnt vmcnt(0)
	v_addc_co_u32_e32 v5, vcc, v2, v5, vcc
	global_store_dwordx2 v[4:5], v[10:11], off
	ds_read2_b64 v[4:7], v28 offset0:8 offset1:9
	buffer_load_dword v8, off, s[52:55], 0 offset:112 ; 4-byte Folded Reload
	buffer_load_dword v9, off, s[52:55], 0 offset:116 ; 4-byte Folded Reload
	;; [unrolled: 34-line block ×7, first 2 shown]
	s_waitcnt vmcnt(1)
	v_add_co_u32_e32 v12, vcc, s8, v8
	s_waitcnt vmcnt(0)
	v_addc_co_u32_e32 v13, vcc, v2, v9, vcc
	s_waitcnt lgkmcnt(0)
	global_store_dwordx2 v[12:13], v[4:5], off
	ds_read2_b64 v[8:11], v28 offset0:30 offset1:31
	buffer_load_dword v4, off, s[52:55], 0 offset:280 ; 4-byte Folded Reload
	buffer_load_dword v5, off, s[52:55], 0 offset:284 ; 4-byte Folded Reload
	s_waitcnt vmcnt(1)
	v_add_co_u32_e32 v4, vcc, s8, v4
	s_waitcnt vmcnt(0)
	v_addc_co_u32_e32 v5, vcc, v2, v5, vcc
	global_store_dwordx2 v[4:5], v[6:7], off
	buffer_load_dword v4, off, s[52:55], 0 offset:288 ; 4-byte Folded Reload
	s_nop 0
	buffer_load_dword v5, off, s[52:55], 0 offset:292 ; 4-byte Folded Reload
	s_waitcnt vmcnt(1)
	v_add_co_u32_e32 v4, vcc, s8, v4
	s_waitcnt vmcnt(0)
	v_addc_co_u32_e32 v5, vcc, v2, v5, vcc
	s_waitcnt lgkmcnt(0)
	global_store_dwordx2 v[4:5], v[8:9], off
	v_add_co_u32_e32 v4, vcc, s8, v124
	v_addc_co_u32_e32 v5, vcc, v2, v125, vcc
	global_store_dwordx2 v[4:5], v[10:11], off
	s_branch .LBB1_1
.LBB1_69:
	s_endpgm
	.section	.rodata,"a",@progbits
	.p2align	6, 0x0
	.amdhsa_kernel _Z21bit_rev_permutation_zPlPKlj
		.amdhsa_group_segment_fixed_size 0
		.amdhsa_private_segment_fixed_size 300
		.amdhsa_kernarg_size 280
		.amdhsa_user_sgpr_count 6
		.amdhsa_user_sgpr_private_segment_buffer 1
		.amdhsa_user_sgpr_dispatch_ptr 0
		.amdhsa_user_sgpr_queue_ptr 0
		.amdhsa_user_sgpr_kernarg_segment_ptr 1
		.amdhsa_user_sgpr_dispatch_id 0
		.amdhsa_user_sgpr_flat_scratch_init 0
		.amdhsa_user_sgpr_kernarg_preload_length 0
		.amdhsa_user_sgpr_kernarg_preload_offset 0
		.amdhsa_user_sgpr_private_segment_size 0
		.amdhsa_uses_dynamic_stack 0
		.amdhsa_system_sgpr_private_segment_wavefront_offset 1
		.amdhsa_system_sgpr_workgroup_id_x 1
		.amdhsa_system_sgpr_workgroup_id_y 0
		.amdhsa_system_sgpr_workgroup_id_z 0
		.amdhsa_system_sgpr_workgroup_info 0
		.amdhsa_system_vgpr_workitem_id 0
		.amdhsa_next_free_vgpr 128
		.amdhsa_next_free_sgpr 56
		.amdhsa_accum_offset 128
		.amdhsa_reserve_vcc 1
		.amdhsa_reserve_flat_scratch 0
		.amdhsa_float_round_mode_32 0
		.amdhsa_float_round_mode_16_64 0
		.amdhsa_float_denorm_mode_32 3
		.amdhsa_float_denorm_mode_16_64 3
		.amdhsa_dx10_clamp 1
		.amdhsa_ieee_mode 1
		.amdhsa_fp16_overflow 0
		.amdhsa_tg_split 0
		.amdhsa_exception_fp_ieee_invalid_op 0
		.amdhsa_exception_fp_denorm_src 0
		.amdhsa_exception_fp_ieee_div_zero 0
		.amdhsa_exception_fp_ieee_overflow 0
		.amdhsa_exception_fp_ieee_underflow 0
		.amdhsa_exception_fp_ieee_inexact 0
		.amdhsa_exception_int_div_zero 0
	.end_amdhsa_kernel
	.text
.Lfunc_end1:
	.size	_Z21bit_rev_permutation_zPlPKlj, .Lfunc_end1-_Z21bit_rev_permutation_zPlPKlj
                                        ; -- End function
	.section	.AMDGPU.csdata,"",@progbits
; Kernel info:
; codeLenInByte = 7964
; NumSgprs: 60
; NumVgprs: 128
; NumAgprs: 0
; TotalNumVgprs: 128
; ScratchSize: 300
; MemoryBound: 0
; FloatMode: 240
; IeeeMode: 1
; LDSByteSize: 0 bytes/workgroup (compile time only)
; SGPRBlocks: 7
; VGPRBlocks: 15
; NumSGPRsForWavesPerEU: 60
; NumVGPRsForWavesPerEU: 128
; AccumOffset: 128
; Occupancy: 4
; WaveLimiterHint : 0
; COMPUTE_PGM_RSRC2:SCRATCH_EN: 1
; COMPUTE_PGM_RSRC2:USER_SGPR: 6
; COMPUTE_PGM_RSRC2:TRAP_HANDLER: 0
; COMPUTE_PGM_RSRC2:TGID_X_EN: 1
; COMPUTE_PGM_RSRC2:TGID_Y_EN: 0
; COMPUTE_PGM_RSRC2:TGID_Z_EN: 0
; COMPUTE_PGM_RSRC2:TIDIG_COMP_CNT: 0
; COMPUTE_PGM_RSRC3_GFX90A:ACCUM_OFFSET: 31
; COMPUTE_PGM_RSRC3_GFX90A:TG_SPLIT: 0
	.text
	.p2alignl 6, 3212836864
	.fill 256, 4, 3212836864
	.type	__hip_cuid_c1104b70bed0a52e,@object ; @__hip_cuid_c1104b70bed0a52e
	.section	.bss,"aw",@nobits
	.globl	__hip_cuid_c1104b70bed0a52e
__hip_cuid_c1104b70bed0a52e:
	.byte	0                               ; 0x0
	.size	__hip_cuid_c1104b70bed0a52e, 1

	.ident	"AMD clang version 19.0.0git (https://github.com/RadeonOpenCompute/llvm-project roc-6.4.0 25133 c7fe45cf4b819c5991fe208aaa96edf142730f1d)"
	.section	".note.GNU-stack","",@progbits
	.addrsig
	.addrsig_sym __hip_cuid_c1104b70bed0a52e
	.amdgpu_metadata
---
amdhsa.kernels:
  - .agpr_count:     0
    .args:
      - .address_space:  global
        .offset:         0
        .size:           8
        .value_kind:     global_buffer
      - .address_space:  global
        .offset:         8
        .size:           8
        .value_kind:     global_buffer
      - .offset:         16
        .size:           4
        .value_kind:     by_value
      - .offset:         24
        .size:           4
        .value_kind:     hidden_block_count_x
      - .offset:         28
        .size:           4
        .value_kind:     hidden_block_count_y
      - .offset:         32
        .size:           4
        .value_kind:     hidden_block_count_z
      - .offset:         36
        .size:           2
        .value_kind:     hidden_group_size_x
      - .offset:         38
        .size:           2
        .value_kind:     hidden_group_size_y
      - .offset:         40
        .size:           2
        .value_kind:     hidden_group_size_z
      - .offset:         42
        .size:           2
        .value_kind:     hidden_remainder_x
      - .offset:         44
        .size:           2
        .value_kind:     hidden_remainder_y
      - .offset:         46
        .size:           2
        .value_kind:     hidden_remainder_z
      - .offset:         64
        .size:           8
        .value_kind:     hidden_global_offset_x
      - .offset:         72
        .size:           8
        .value_kind:     hidden_global_offset_y
      - .offset:         80
        .size:           8
        .value_kind:     hidden_global_offset_z
      - .offset:         88
        .size:           2
        .value_kind:     hidden_grid_dims
    .group_segment_fixed_size: 0
    .kernarg_segment_align: 8
    .kernarg_segment_size: 280
    .language:       OpenCL C
    .language_version:
      - 2
      - 0
    .max_flat_workgroup_size: 1024
    .name:           _Z19bit_rev_permutationPlPKlj
    .private_segment_fixed_size: 0
    .sgpr_count:     20
    .sgpr_spill_count: 0
    .symbol:         _Z19bit_rev_permutationPlPKlj.kd
    .uniform_work_group_size: 1
    .uses_dynamic_stack: false
    .vgpr_count:     10
    .vgpr_spill_count: 0
    .wavefront_size: 64
  - .agpr_count:     0
    .args:
      - .address_space:  global
        .offset:         0
        .size:           8
        .value_kind:     global_buffer
      - .address_space:  global
        .offset:         8
        .size:           8
        .value_kind:     global_buffer
      - .offset:         16
        .size:           4
        .value_kind:     by_value
      - .offset:         24
        .size:           4
        .value_kind:     hidden_block_count_x
      - .offset:         28
        .size:           4
        .value_kind:     hidden_block_count_y
      - .offset:         32
        .size:           4
        .value_kind:     hidden_block_count_z
      - .offset:         36
        .size:           2
        .value_kind:     hidden_group_size_x
      - .offset:         38
        .size:           2
        .value_kind:     hidden_group_size_y
      - .offset:         40
        .size:           2
        .value_kind:     hidden_group_size_z
      - .offset:         42
        .size:           2
        .value_kind:     hidden_remainder_x
      - .offset:         44
        .size:           2
        .value_kind:     hidden_remainder_y
      - .offset:         46
        .size:           2
        .value_kind:     hidden_remainder_z
      - .offset:         64
        .size:           8
        .value_kind:     hidden_global_offset_x
      - .offset:         72
        .size:           8
        .value_kind:     hidden_global_offset_y
      - .offset:         80
        .size:           8
        .value_kind:     hidden_global_offset_z
      - .offset:         88
        .size:           2
        .value_kind:     hidden_grid_dims
      - .offset:         144
        .size:           4
        .value_kind:     hidden_dynamic_lds_size
    .group_segment_fixed_size: 0
    .kernarg_segment_align: 8
    .kernarg_segment_size: 280
    .language:       OpenCL C
    .language_version:
      - 2
      - 0
    .max_flat_workgroup_size: 1024
    .name:           _Z21bit_rev_permutation_zPlPKlj
    .private_segment_fixed_size: 300
    .sgpr_count:     60
    .sgpr_spill_count: 0
    .symbol:         _Z21bit_rev_permutation_zPlPKlj.kd
    .uniform_work_group_size: 1
    .uses_dynamic_stack: false
    .vgpr_count:     128
    .vgpr_spill_count: 86
    .wavefront_size: 64
amdhsa.target:   amdgcn-amd-amdhsa--gfx90a
amdhsa.version:
  - 1
  - 2
...

	.end_amdgpu_metadata
